;; amdgpu-corpus repo=zjin-lcf/HeCBench kind=compiled arch=gfx1100 opt=O3
	.text
	.amdgcn_target "amdgcn-amd-amdhsa--gfx1100"
	.amdhsa_code_object_version 6
	.protected	_Z16pair_HMM_forwardiiPA41_A4_A2_KdPA4_A2_A3_S_S3_PA2_S1_PS0_PA41_A4_A2_d ; -- Begin function _Z16pair_HMM_forwardiiPA41_A4_A2_KdPA4_A2_A3_S_S3_PA2_S1_PS0_PA41_A4_A2_d
	.globl	_Z16pair_HMM_forwardiiPA41_A4_A2_KdPA4_A2_A3_S_S3_PA2_S1_PS0_PA41_A4_A2_d
	.p2align	8
	.type	_Z16pair_HMM_forwardiiPA41_A4_A2_KdPA4_A2_A3_S_S3_PA2_S1_PS0_PA41_A4_A2_d,@function
_Z16pair_HMM_forwardiiPA41_A4_A2_KdPA4_A2_A3_S_S3_PA2_S1_PS0_PA41_A4_A2_d: ; @_Z16pair_HMM_forwardiiPA41_A4_A2_KdPA4_A2_A3_S_S3_PA2_S1_PS0_PA41_A4_A2_d
; %bb.0:
	s_load_b256 s[4:11], s[0:1], 0x0
	s_ashr_i32 s13, s15, 31
	s_mov_b32 s12, s15
	v_dual_mov_b32 v1, 0 :: v_dual_lshlrev_b32 v0, 3, v0
	s_movk_i32 s18, 0x180
	s_delay_alu instid0(SALU_CYCLE_1)
	v_add_nc_u32_e64 v3, s18, 0
	s_waitcnt lgkmcnt(0)
	s_mul_i32 s2, s4, 0xa40
	s_ashr_i32 s17, s5, 31
	s_mov_b32 s16, s5
	s_mul_hi_i32 s3, s4, 0xa40
	s_add_u32 s2, s10, s2
	s_addc_u32 s3, s11, s3
	s_lshl_b64 s[10:11], s[16:17], 6
	s_mul_hi_i32 s19, s4, 0xc0
	s_add_u32 s14, s2, s10
	s_addc_u32 s15, s3, s11
	s_lshl_b64 s[2:3], s[12:13], 4
	s_mul_hi_i32 s13, s12, 48
	s_add_u32 s14, s14, s2
	s_addc_u32 s15, s15, s3
	s_mov_b32 s17, -1
	global_load_b64 v[22:23], v0, s[14:15]
	s_mul_i32 s15, s4, 0xc0
	s_mul_i32 s14, s12, 48
	s_add_u32 s8, s8, s15
	s_addc_u32 s9, s9, s19
	s_add_u32 s8, s8, s14
	s_addc_u32 s9, s9, s13
	s_add_u32 s14, s8, 0xffffff40
	s_addc_u32 s15, s9, -1
	s_lshl_b32 s19, s12, 5
	s_clause 0x1
	s_load_b128 s[20:23], s[8:9], 0x0
	s_load_b128 s[24:27], s[8:9], 0x18
	s_add_i32 s28, s19, 0
	s_add_i32 s33, s19, 0
	;; [unrolled: 1-line block ×5, first 2 shown]
	s_add_u32 s8, s8, 0xffffff58
	s_addc_u32 s9, s9, -1
	s_clause 0x1
	s_load_b128 s[28:31], s[14:15], 0x0
	s_load_b128 s[36:39], s[8:9], 0x0
	s_clause 0x1
	s_load_b64 s[14:15], s[0:1], 0x20
	s_load_b64 s[8:9], s[0:1], 0x30
	s_cmp_gt_i32 s4, 0
	v_add_nc_u32_e32 v5, 0x80, v1
	s_cselect_b32 s18, -1, 0
	s_cmp_lt_i32 s4, 1
	v_add_nc_u32_e32 v4, 0x100, v1
	s_cselect_b32 s40, -1, 0
	s_cmp_lg_u32 s5, 0
	v_lshl_add_u32 v1, s12, 4, v0
	s_cselect_b32 s5, -1, 0
	s_waitcnt lgkmcnt(0)
	v_dual_mov_b32 v6, s20 :: v_dual_add_nc_u32 v25, s19, v3
	v_mov_b32_e32 v8, s22
	v_dual_mov_b32 v9, s23 :: v_dual_add_nc_u32 v2, s19, v5
	v_dual_mov_b32 v7, s21 :: v_dual_mov_b32 v10, s24
	v_dual_mov_b32 v13, s27 :: v_dual_add_nc_u32 v24, s19, v4
	v_mov_b32_e32 v11, s25
	s_or_b32 s5, s40, s5
	v_mov_b32_e32 v12, s26
	v_dual_mov_b32 v14, s28 :: v_dual_mov_b32 v17, s31
	v_dual_mov_b32 v15, s29 :: v_dual_mov_b32 v16, s30
	s_and_b32 vcc_lo, exec_lo, s5
	v_dual_mov_b32 v18, s36 :: v_dual_mov_b32 v21, s39
	v_dual_mov_b32 v19, s37 :: v_dual_mov_b32 v20, s38
	s_clause 0x7
	scratch_store_b128 off, v[6:9], s35
	scratch_store_b128 v25, v[10:13], off offset:16
	scratch_store_b128 off, v[14:17], s13
	scratch_store_b128 off, v[6:9], s34
	;; [unrolled: 1-line block ×3, first 2 shown]
	scratch_store_b128 off, v[18:21], s33 offset:16
	scratch_store_b128 v2, v[18:21], off offset:16
	scratch_store_b128 v24, v[10:13], off offset:16
	s_waitcnt vmcnt(0)
	ds_store_b64 v1, v[22:23] offset:256
	s_waitcnt lgkmcnt(0)
	s_waitcnt_vscnt null, 0x0
	s_barrier
	buffer_gl0_inv
	s_cbranch_vccz .LBB0_4
; %bb.1:
	s_cmp_lt_i32 s16, 1
	s_cselect_b32 s5, -1, 0
	s_xor_b32 s17, s18, -1
	s_delay_alu instid0(SALU_CYCLE_1) | instskip(NEXT) | instid1(SALU_CYCLE_1)
	s_or_b32 s5, s17, s5
	s_and_b32 vcc_lo, exec_lo, s5
	s_cbranch_vccnz .LBB0_3
; %bb.2:
	s_lshl_b32 s33, s12, 4
	s_add_i32 s16, s16, -1
	s_mov_b32 s17, 0
	s_add_i32 s40, s33, 0x200
	s_lshl_b64 s[18:19], s[16:17], 6
	s_mul_i32 s16, s4, 0xa40
	s_add_i32 s41, s40, 64
	s_add_i32 s42, s40, 0x80
	;; [unrolled: 1-line block ×3, first 2 shown]
	s_mul_hi_i32 s5, s4, 0xa40
	s_add_u32 s17, s6, s16
	s_addc_u32 s22, s7, s5
	s_add_u32 s18, s17, s18
	s_addc_u32 s19, s22, s19
	;; [unrolled: 2-line block ×3, first 2 shown]
	s_add_u32 s20, s18, 0xfffff5c0
	s_addc_u32 s21, s19, -1
	s_add_u32 s17, s17, s10
	s_addc_u32 s22, s22, s11
	s_add_u32 s34, s17, s2
	s_addc_u32 s35, s22, s3
	s_add_u32 s24, s34, 0xfffff5c0
	s_addc_u32 s25, s35, -1
	s_clause 0x3
	s_load_b128 s[20:23], s[20:21], 0x0
	s_load_b128 s[24:27], s[24:25], 0x0
	;; [unrolled: 1-line block ×4, first 2 shown]
	s_lshl_b32 s17, s12, 5
	s_add_u32 s18, s14, s2
	v_add3_u32 v30, 0, s17, v0
	v_add3_u32 v5, v5, s17, v0
	;; [unrolled: 1-line block ×4, first 2 shown]
	s_addc_u32 s19, s15, s3
	v_add_nc_u32_e32 v24, 0x80, v30
	v_add_nc_u32_e32 v26, 0x100, v30
	;; [unrolled: 1-line block ×3, first 2 shown]
	s_add_u32 s16, s8, s16
	s_addc_u32 s5, s9, s5
	s_add_u32 s16, s16, s10
	s_addc_u32 s5, s5, s11
	;; [unrolled: 2-line block ×3, first 2 shown]
	s_waitcnt lgkmcnt(0)
	v_dual_mov_b32 v6, s20 :: v_dual_mov_b32 v9, s23
	v_dual_mov_b32 v7, s21 :: v_dual_mov_b32 v8, s22
	;; [unrolled: 1-line block ×8, first 2 shown]
	s_clause 0x3
	scratch_store_b128 off, v[6:9], s40
	scratch_store_b128 off, v[10:13], s41
	;; [unrolled: 1-line block ×4, first 2 shown]
	s_waitcnt_vscnt null, 0x0
	s_barrier
	buffer_gl0_inv
	scratch_load_b64 v[22:23], v30, off
	s_clause 0x1
	scratch_load_b128 v[6:9], off, s40
	scratch_load_b128 v[10:13], off, s41
	s_clause 0x1
	scratch_load_b64 v[24:25], v24, off
	scratch_load_b64 v[26:27], v26, off
	s_clause 0x1
	scratch_load_b128 v[14:17], off, s42
	scratch_load_b128 v[18:21], off, s43
	s_clause 0x4
	scratch_load_b64 v[28:29], v28, off
	scratch_load_b64 v[3:4], v30, off offset:16
	scratch_load_b64 v[30:31], v5, off offset:16
	;; [unrolled: 1-line block ×4, first 2 shown]
	s_clause 0x3
	global_load_b64 v[36:37], v0, s[18:19]
	global_load_b64 v[38:39], v0, s[18:19] offset:64
	global_load_b64 v[40:41], v0, s[18:19] offset:128
	;; [unrolled: 1-line block ×3, first 2 shown]
	s_waitcnt vmcnt(10)
	v_fma_f64 v[14:15], v[14:15], v[26:27], 0
	v_fma_f64 v[5:6], v[6:7], v[22:23], 0
	;; [unrolled: 1-line block ×3, first 2 shown]
	s_waitcnt vmcnt(8)
	v_fma_f64 v[18:19], v[18:19], v[28:29], 0
	s_waitcnt vmcnt(7)
	s_delay_alu instid0(VALU_DEP_3) | instskip(SKIP_1) | instid1(VALU_DEP_3)
	v_fma_f64 v[3:4], v[8:9], v[3:4], v[5:6]
	s_waitcnt vmcnt(6)
	v_fma_f64 v[5:6], v[12:13], v[30:31], v[10:11]
	v_add_nc_u32_e32 v11, s33, v0
	s_waitcnt vmcnt(5)
	v_fma_f64 v[7:8], v[16:17], v[32:33], v[14:15]
	s_waitcnt vmcnt(4)
	v_fma_f64 v[9:10], v[20:21], v[34:35], v[18:19]
	v_mov_b32_e32 v15, s33
	s_waitcnt vmcnt(3)
	v_mul_f64 v[3:4], v[3:4], v[36:37]
	s_waitcnt vmcnt(2)
	v_mul_f64 v[5:6], v[5:6], v[38:39]
	;; [unrolled: 2-line block ×4, first 2 shown]
	ds_store_2addr_b64 v11, v[3:4], v[5:6] offset1:8
	ds_store_2addr_b64 v11, v[7:8], v[9:10] offset0:16 offset1:24
	s_waitcnt lgkmcnt(0)
	s_barrier
	buffer_gl0_inv
	ds_load_b128 v[3:6], v15
	ds_load_b128 v[7:10], v15 offset:64
	s_waitcnt lgkmcnt(0)
	v_add_f64 v[11:12], v[3:4], v[7:8]
	v_add_f64 v[13:14], v[5:6], v[9:10]
	ds_load_b128 v[3:6], v15 offset:128
	ds_load_b128 v[7:10], v15 offset:192
	s_waitcnt lgkmcnt(1)
	v_add_f64 v[3:4], v[11:12], v[3:4]
	v_add_f64 v[5:6], v[13:14], v[5:6]
	s_waitcnt lgkmcnt(0)
	s_delay_alu instid0(VALU_DEP_2) | instskip(NEXT) | instid1(VALU_DEP_2)
	v_add_f64 v[7:8], v[3:4], v[7:8]
	v_add_f64 v[9:10], v[5:6], v[9:10]
	ds_load_b128 v[3:6], v15 offset:256
	s_waitcnt lgkmcnt(0)
	v_mul_f64 v[3:4], v[7:8], v[3:4]
	v_mul_f64 v[5:6], v[9:10], v[5:6]
	v_mov_b32_e32 v7, 0
	global_store_b128 v7, v[3:6], s[16:17]
.LBB0_3:
	s_mov_b32 s17, 0
.LBB0_4:
	s_delay_alu instid0(SALU_CYCLE_1)
	s_and_not1_b32 vcc_lo, exec_lo, s17
	s_cbranch_vccnz .LBB0_9
; %bb.5:
	s_cmp_lg_u32 s4, 1
	s_mov_b32 s5, -1
	s_cbranch_scc0 .LBB0_7
; %bb.6:
	s_lshl_b32 s16, s12, 5
	s_mul_i32 s17, s4, 0xa40
	s_add_i32 s18, s16, 0x200
	s_mul_hi_i32 s19, s4, 0xa40
	s_add_u32 s4, s6, s17
	s_addc_u32 s5, s7, s19
	s_add_u32 s4, s4, s10
	s_addc_u32 s5, s5, s11
	;; [unrolled: 2-line block ×3, first 2 shown]
	s_clause 0x1
	scratch_load_b128 v[3:6], off, s13
	scratch_load_b128 v[7:10], v2, off offset:16
	global_load_b64 v[11:12], v0, s[4:5] offset:-2624
	v_add_nc_u32_e64 v2, 0x200, s16
	s_lshl_b32 s6, s12, 4
	s_add_u32 s4, s14, s2
	v_add3_u32 v13, 0x140, s6, v0
	s_addc_u32 s5, s15, s3
	v_add_nc_u32_e32 v2, v2, v0
	s_waitcnt vmcnt(2)
	scratch_store_b128 off, v[3:6], s18
	s_waitcnt vmcnt(1)
	scratch_store_b128 off, v[7:10], s18 offset:16
	s_waitcnt vmcnt(0)
	ds_store_b64 v13, v[11:12]
	s_waitcnt lgkmcnt(0)
	s_waitcnt_vscnt null, 0x0
	s_barrier
	buffer_gl0_inv
	scratch_load_b64 v[6:7], v2, off
	global_load_b64 v[8:9], v0, s[4:5] offset:64
	scratch_load_b64 v[10:11], v2, off offset:16
	v_dual_mov_b32 v2, s6 :: v_dual_add_nc_u32 v1, 0x100, v1
	s_add_u32 s4, s8, s17
	s_addc_u32 s5, s9, s19
	ds_load_b128 v[2:5], v2 offset:320
	s_waitcnt vmcnt(2) lgkmcnt(0)
	v_fma_f64 v[2:3], v[2:3], v[6:7], 0
	ds_load_b64 v[6:7], v1
	s_waitcnt vmcnt(1) lgkmcnt(0)
	v_mul_f64 v[6:7], v[6:7], v[8:9]
	s_waitcnt vmcnt(0)
	v_fma_f64 v[1:2], v[4:5], v[10:11], v[2:3]
	v_add_nc_u32_e32 v3, s6, v0
	s_add_u32 s6, s4, s2
	s_addc_u32 s7, s5, s3
	s_mov_b32 s5, 0
	s_delay_alu instid0(VALU_DEP_2)
	v_mul_f64 v[1:2], v[1:2], v[6:7]
	ds_store_b64 v3, v[1:2] offset:384
	s_waitcnt lgkmcnt(0)
	s_barrier
	buffer_gl0_inv
	ds_load_b64 v[1:2], v3 offset:384
	s_waitcnt lgkmcnt(0)
	global_store_b64 v0, v[1:2], s[6:7]
.LBB0_7:
	s_and_not1_b32 vcc_lo, exec_lo, s5
	s_cbranch_vccnz .LBB0_9
; %bb.8:
	s_load_b64 s[0:1], s[0:1], 0x28
	ds_load_b64 v[3:4], v0 offset:256
	s_waitcnt lgkmcnt(0)
	s_add_u32 s0, s0, s2
	s_addc_u32 s1, s1, s3
	global_load_b64 v[1:2], v0, s[0:1]
	s_add_u32 s0, s8, s2
	s_addc_u32 s1, s9, s3
	s_waitcnt vmcnt(0)
	v_mul_f64 v[1:2], v[1:2], v[3:4]
	global_store_b64 v0, v[1:2], s[0:1] offset:2624
.LBB0_9:
	s_nop 0
	s_sendmsg sendmsg(MSG_DEALLOC_VGPRS)
	s_endpgm
	.section	.rodata,"a",@progbits
	.p2align	6, 0x0
	.amdhsa_kernel _Z16pair_HMM_forwardiiPA41_A4_A2_KdPA4_A2_A3_S_S3_PA2_S1_PS0_PA41_A4_A2_d
		.amdhsa_group_segment_fixed_size 448
		.amdhsa_private_segment_fixed_size 784
		.amdhsa_kernarg_size 56
		.amdhsa_user_sgpr_count 15
		.amdhsa_user_sgpr_dispatch_ptr 0
		.amdhsa_user_sgpr_queue_ptr 0
		.amdhsa_user_sgpr_kernarg_segment_ptr 1
		.amdhsa_user_sgpr_dispatch_id 0
		.amdhsa_user_sgpr_private_segment_size 0
		.amdhsa_wavefront_size32 1
		.amdhsa_uses_dynamic_stack 0
		.amdhsa_enable_private_segment 1
		.amdhsa_system_sgpr_workgroup_id_x 1
		.amdhsa_system_sgpr_workgroup_id_y 0
		.amdhsa_system_sgpr_workgroup_id_z 0
		.amdhsa_system_sgpr_workgroup_info 0
		.amdhsa_system_vgpr_workitem_id 0
		.amdhsa_next_free_vgpr 44
		.amdhsa_next_free_sgpr 44
		.amdhsa_reserve_vcc 1
		.amdhsa_float_round_mode_32 0
		.amdhsa_float_round_mode_16_64 0
		.amdhsa_float_denorm_mode_32 3
		.amdhsa_float_denorm_mode_16_64 3
		.amdhsa_dx10_clamp 1
		.amdhsa_ieee_mode 1
		.amdhsa_fp16_overflow 0
		.amdhsa_workgroup_processor_mode 1
		.amdhsa_memory_ordered 1
		.amdhsa_forward_progress 0
		.amdhsa_shared_vgpr_count 0
		.amdhsa_exception_fp_ieee_invalid_op 0
		.amdhsa_exception_fp_denorm_src 0
		.amdhsa_exception_fp_ieee_div_zero 0
		.amdhsa_exception_fp_ieee_overflow 0
		.amdhsa_exception_fp_ieee_underflow 0
		.amdhsa_exception_fp_ieee_inexact 0
		.amdhsa_exception_int_div_zero 0
	.end_amdhsa_kernel
	.text
.Lfunc_end0:
	.size	_Z16pair_HMM_forwardiiPA41_A4_A2_KdPA4_A2_A3_S_S3_PA2_S1_PS0_PA41_A4_A2_d, .Lfunc_end0-_Z16pair_HMM_forwardiiPA41_A4_A2_KdPA4_A2_A3_S_S3_PA2_S1_PS0_PA41_A4_A2_d
                                        ; -- End function
	.section	.AMDGPU.csdata,"",@progbits
; Kernel info:
; codeLenInByte = 1832
; NumSgprs: 46
; NumVgprs: 44
; ScratchSize: 784
; MemoryBound: 1
; FloatMode: 240
; IeeeMode: 1
; LDSByteSize: 448 bytes/workgroup (compile time only)
; SGPRBlocks: 5
; VGPRBlocks: 5
; NumSGPRsForWavesPerEU: 46
; NumVGPRsForWavesPerEU: 44
; Occupancy: 16
; WaveLimiterHint : 1
; COMPUTE_PGM_RSRC2:SCRATCH_EN: 1
; COMPUTE_PGM_RSRC2:USER_SGPR: 15
; COMPUTE_PGM_RSRC2:TRAP_HANDLER: 0
; COMPUTE_PGM_RSRC2:TGID_X_EN: 1
; COMPUTE_PGM_RSRC2:TGID_Y_EN: 0
; COMPUTE_PGM_RSRC2:TGID_Z_EN: 0
; COMPUTE_PGM_RSRC2:TIDIG_COMP_CNT: 0
	.text
	.p2alignl 7, 3214868480
	.fill 96, 4, 3214868480
	.type	__hip_cuid_2d5f4eca9e828d90,@object ; @__hip_cuid_2d5f4eca9e828d90
	.section	.bss,"aw",@nobits
	.globl	__hip_cuid_2d5f4eca9e828d90
__hip_cuid_2d5f4eca9e828d90:
	.byte	0                               ; 0x0
	.size	__hip_cuid_2d5f4eca9e828d90, 1

	.ident	"AMD clang version 19.0.0git (https://github.com/RadeonOpenCompute/llvm-project roc-6.4.0 25133 c7fe45cf4b819c5991fe208aaa96edf142730f1d)"
	.section	".note.GNU-stack","",@progbits
	.addrsig
	.addrsig_sym __hip_cuid_2d5f4eca9e828d90
	.amdgpu_metadata
---
amdhsa.kernels:
  - .args:
      - .offset:         0
        .size:           4
        .value_kind:     by_value
      - .offset:         4
        .size:           4
        .value_kind:     by_value
      - .actual_access:  read_only
        .address_space:  global
        .offset:         8
        .size:           8
        .value_kind:     global_buffer
      - .actual_access:  read_only
        .address_space:  global
        .offset:         16
        .size:           8
        .value_kind:     global_buffer
      - .actual_access:  read_only
        .address_space:  global
        .offset:         24
        .size:           8
        .value_kind:     global_buffer
      - .actual_access:  read_only
        .address_space:  global
        .offset:         32
        .size:           8
        .value_kind:     global_buffer
      - .actual_access:  read_only
        .address_space:  global
        .offset:         40
        .size:           8
        .value_kind:     global_buffer
      - .actual_access:  write_only
        .address_space:  global
        .offset:         48
        .size:           8
        .value_kind:     global_buffer
    .group_segment_fixed_size: 448
    .kernarg_segment_align: 8
    .kernarg_segment_size: 56
    .language:       OpenCL C
    .language_version:
      - 2
      - 0
    .max_flat_workgroup_size: 1024
    .name:           _Z16pair_HMM_forwardiiPA41_A4_A2_KdPA4_A2_A3_S_S3_PA2_S1_PS0_PA41_A4_A2_d
    .private_segment_fixed_size: 784
    .sgpr_count:     46
    .sgpr_spill_count: 0
    .symbol:         _Z16pair_HMM_forwardiiPA41_A4_A2_KdPA4_A2_A3_S_S3_PA2_S1_PS0_PA41_A4_A2_d.kd
    .uniform_work_group_size: 1
    .uses_dynamic_stack: false
    .vgpr_count:     44
    .vgpr_spill_count: 0
    .wavefront_size: 32
    .workgroup_processor_mode: 1
amdhsa.target:   amdgcn-amd-amdhsa--gfx1100
amdhsa.version:
  - 1
  - 2
...

	.end_amdgpu_metadata
